;; amdgpu-corpus repo=LLNL/RAJAPerf kind=compiled arch=gfx906 opt=O3
	.amdgcn_target "amdgcn-amd-amdhsa--gfx906"
	.amdhsa_code_object_version 6
	.text
	.protected	_Z13matMultKerneliPdS_S_ ; -- Begin function _Z13matMultKerneliPdS_S_
	.globl	_Z13matMultKerneliPdS_S_
	.p2align	8
	.type	_Z13matMultKerneliPdS_S_,@function
_Z13matMultKerneliPdS_S_:               ; @_Z13matMultKerneliPdS_S_
; %bb.0:
	s_load_dword s0, s[4:5], 0x2c
	s_load_dword s8, s[4:5], 0x0
	s_waitcnt lgkmcnt(0)
	s_lshr_b32 s1, s0, 16
	s_and_b32 s0, s0, 0xffff
	s_mul_i32 s7, s7, s1
	s_mul_i32 s6, s6, s0
	v_add_u32_e32 v1, s7, v1
	v_add_u32_e32 v7, s6, v0
	v_max_i32_e32 v0, v1, v7
	v_cmp_gt_i32_e32 vcc, s8, v0
	s_and_saveexec_b64 s[0:1], vcc
	s_cbranch_execz .LBB0_6
; %bb.1:
	s_load_dwordx4 s[0:3], s[4:5], 0x8
	s_load_dwordx2 s[6:7], s[4:5], 0x18
	v_mul_lo_u32 v0, v1, s8
	s_cmp_lt_i32 s8, 1
	s_cbranch_scc1 .LBB0_4
; %bb.2:
	v_ashrrev_i32_e32 v1, 31, v0
	v_lshlrev_b64 v[1:2], 3, v[0:1]
	s_waitcnt lgkmcnt(0)
	v_mov_b32_e32 v4, s3
	v_add_co_u32_e32 v3, vcc, s2, v1
	v_addc_co_u32_e32 v4, vcc, v4, v2, vcc
	v_mov_b32_e32 v1, 0
	v_mov_b32_e32 v2, 0
	;; [unrolled: 1-line block ×4, first 2 shown]
	s_mov_b32 s2, s8
.LBB0_3:                                ; =>This Inner Loop Header: Depth=1
	v_ashrrev_i32_e32 v6, 31, v5
	v_lshlrev_b64 v[11:12], 3, v[5:6]
	global_load_dwordx2 v[9:10], v[3:4], off
	v_add_co_u32_e32 v11, vcc, s6, v11
	v_addc_co_u32_e32 v12, vcc, v8, v12, vcc
	global_load_dwordx2 v[11:12], v[11:12], off
	s_add_i32 s2, s2, -1
	v_add_co_u32_e32 v3, vcc, 8, v3
	v_addc_co_u32_e32 v4, vcc, 0, v4, vcc
	s_cmp_eq_u32 s2, 0
	v_add_u32_e32 v5, s8, v5
	s_waitcnt vmcnt(0)
	v_fma_f64 v[1:2], v[9:10], v[11:12], v[1:2]
	s_cbranch_scc0 .LBB0_3
	s_branch .LBB0_5
.LBB0_4:
	v_mov_b32_e32 v1, 0
	v_mov_b32_e32 v2, 0
.LBB0_5:
	v_add_u32_e32 v3, v7, v0
	v_ashrrev_i32_e32 v4, 31, v3
	v_lshlrev_b64 v[3:4], 3, v[3:4]
	s_waitcnt lgkmcnt(0)
	v_mov_b32_e32 v0, s1
	v_add_co_u32_e32 v3, vcc, s0, v3
	v_addc_co_u32_e32 v4, vcc, v0, v4, vcc
	global_store_dwordx2 v[3:4], v[1:2], off
.LBB0_6:
	s_endpgm
	.section	.rodata,"a",@progbits
	.p2align	6, 0x0
	.amdhsa_kernel _Z13matMultKerneliPdS_S_
		.amdhsa_group_segment_fixed_size 0
		.amdhsa_private_segment_fixed_size 0
		.amdhsa_kernarg_size 288
		.amdhsa_user_sgpr_count 6
		.amdhsa_user_sgpr_private_segment_buffer 1
		.amdhsa_user_sgpr_dispatch_ptr 0
		.amdhsa_user_sgpr_queue_ptr 0
		.amdhsa_user_sgpr_kernarg_segment_ptr 1
		.amdhsa_user_sgpr_dispatch_id 0
		.amdhsa_user_sgpr_flat_scratch_init 0
		.amdhsa_user_sgpr_private_segment_size 0
		.amdhsa_uses_dynamic_stack 0
		.amdhsa_system_sgpr_private_segment_wavefront_offset 0
		.amdhsa_system_sgpr_workgroup_id_x 1
		.amdhsa_system_sgpr_workgroup_id_y 1
		.amdhsa_system_sgpr_workgroup_id_z 0
		.amdhsa_system_sgpr_workgroup_info 0
		.amdhsa_system_vgpr_workitem_id 1
		.amdhsa_next_free_vgpr 13
		.amdhsa_next_free_sgpr 9
		.amdhsa_reserve_vcc 1
		.amdhsa_reserve_flat_scratch 0
		.amdhsa_float_round_mode_32 0
		.amdhsa_float_round_mode_16_64 0
		.amdhsa_float_denorm_mode_32 3
		.amdhsa_float_denorm_mode_16_64 3
		.amdhsa_dx10_clamp 1
		.amdhsa_ieee_mode 1
		.amdhsa_fp16_overflow 0
		.amdhsa_exception_fp_ieee_invalid_op 0
		.amdhsa_exception_fp_denorm_src 0
		.amdhsa_exception_fp_ieee_div_zero 0
		.amdhsa_exception_fp_ieee_overflow 0
		.amdhsa_exception_fp_ieee_underflow 0
		.amdhsa_exception_fp_ieee_inexact 0
		.amdhsa_exception_int_div_zero 0
	.end_amdhsa_kernel
	.text
.Lfunc_end0:
	.size	_Z13matMultKerneliPdS_S_, .Lfunc_end0-_Z13matMultKerneliPdS_S_
                                        ; -- End function
	.set _Z13matMultKerneliPdS_S_.num_vgpr, 13
	.set _Z13matMultKerneliPdS_S_.num_agpr, 0
	.set _Z13matMultKerneliPdS_S_.numbered_sgpr, 9
	.set _Z13matMultKerneliPdS_S_.num_named_barrier, 0
	.set _Z13matMultKerneliPdS_S_.private_seg_size, 0
	.set _Z13matMultKerneliPdS_S_.uses_vcc, 1
	.set _Z13matMultKerneliPdS_S_.uses_flat_scratch, 0
	.set _Z13matMultKerneliPdS_S_.has_dyn_sized_stack, 0
	.set _Z13matMultKerneliPdS_S_.has_recursion, 0
	.set _Z13matMultKerneliPdS_S_.has_indirect_call, 0
	.section	.AMDGPU.csdata,"",@progbits
; Kernel info:
; codeLenInByte = 272
; TotalNumSgprs: 13
; NumVgprs: 13
; ScratchSize: 0
; MemoryBound: 0
; FloatMode: 240
; IeeeMode: 1
; LDSByteSize: 0 bytes/workgroup (compile time only)
; SGPRBlocks: 1
; VGPRBlocks: 3
; NumSGPRsForWavesPerEU: 13
; NumVGPRsForWavesPerEU: 13
; Occupancy: 10
; WaveLimiterHint : 0
; COMPUTE_PGM_RSRC2:SCRATCH_EN: 0
; COMPUTE_PGM_RSRC2:USER_SGPR: 6
; COMPUTE_PGM_RSRC2:TRAP_HANDLER: 0
; COMPUTE_PGM_RSRC2:TGID_X_EN: 1
; COMPUTE_PGM_RSRC2:TGID_Y_EN: 1
; COMPUTE_PGM_RSRC2:TGID_Z_EN: 0
; COMPUTE_PGM_RSRC2:TIDIG_COMP_CNT: 1
	.text
	.protected	_Z19sharedMatMultKerneliPdS_S_ ; -- Begin function _Z19sharedMatMultKerneliPdS_S_
	.globl	_Z19sharedMatMultKerneliPdS_S_
	.p2align	8
	.type	_Z19sharedMatMultKerneliPdS_S_,@function
_Z19sharedMatMultKerneliPdS_S_:         ; @_Z19sharedMatMultKerneliPdS_S_
; %bb.0:
	s_load_dword s16, s[4:5], 0x0
	s_load_dwordx4 s[8:11], s[4:5], 0x8
	s_load_dwordx2 s[12:13], s[4:5], 0x18
	v_lshlrev_b32_e32 v4, 3, v0
	s_lshl_b32 s2, s6, 4
	v_lshl_add_u32 v5, v1, 7, v4
	v_mov_b32_e32 v3, 0
	v_lshl_add_u32 v10, s7, 4, v1
	v_add_u32_e32 v11, s2, v0
	v_add_u32_e32 v9, 0x1000, v5
	v_mov_b32_e32 v2, v3
	s_waitcnt lgkmcnt(0)
	s_cmp_lt_i32 s16, 1
	ds_write_b64 v5, v[2:3] offset:4096
	s_cbranch_scc1 .LBB1_7
; %bb.1:
	v_mul_lo_u32 v2, v1, s16
	v_mul_lo_u32 v14, v10, s16
	s_add_i32 s0, s16, 15
	v_lshlrev_b32_e32 v12, 7, v1
	v_add_u32_e32 v15, 0x800, v4
	s_lshr_b32 s17, s0, 4
	v_cmp_gt_i32_e32 vcc, s16, v10
	v_add_u32_e32 v13, v12, v4
	v_cmp_gt_i32_e64 s[0:1], s16, v11
	v_add_u32_e32 v16, v15, v12
	v_add3_u32 v4, v0, v2, s2
	s_lshl_b32 s18, s16, 4
	v_mov_b32_e32 v17, v1
	v_mov_b32_e32 v18, v0
	s_branch .LBB1_3
.LBB1_2:                                ;   in Loop: Header=BB1_3 Depth=1
	s_or_b64 exec, exec, s[14:15]
	s_waitcnt vmcnt(0)
	ds_write_b64 v16, v[5:6]
	s_waitcnt lgkmcnt(0)
	s_barrier
	ds_read_b64 v[23:24], v9
	ds_read_b128 v[5:8], v12
	ds_read2_b64 v[19:22], v15 offset1:16
	s_add_i32 s17, s17, -1
	v_add_u32_e32 v18, 16, v18
	v_add_u32_e32 v4, s18, v4
	s_cmp_eq_u32 s17, 0
	s_waitcnt lgkmcnt(0)
	v_fma_f64 v[5:6], v[5:6], v[19:20], v[23:24]
	v_add_u32_e32 v17, 16, v17
	v_fma_f64 v[27:28], v[7:8], v[21:22], v[5:6]
	ds_read2_b64 v[5:8], v15 offset0:32 offset1:48
	ds_read_b128 v[19:22], v12 offset:16
	ds_read_b128 v[23:26], v12 offset:32
	s_waitcnt lgkmcnt(1)
	v_fma_f64 v[5:6], v[19:20], v[5:6], v[27:28]
	v_fma_f64 v[19:20], v[21:22], v[7:8], v[5:6]
	ds_read2_b64 v[5:8], v15 offset0:64 offset1:80
	s_waitcnt lgkmcnt(0)
	v_fma_f64 v[5:6], v[23:24], v[5:6], v[19:20]
	v_fma_f64 v[27:28], v[25:26], v[7:8], v[5:6]
	ds_read2_b64 v[5:8], v15 offset0:96 offset1:112
	ds_read_b128 v[19:22], v12 offset:48
	ds_read_b128 v[23:26], v12 offset:64
	s_waitcnt lgkmcnt(1)
	v_fma_f64 v[5:6], v[19:20], v[5:6], v[27:28]
	v_fma_f64 v[19:20], v[21:22], v[7:8], v[5:6]
	ds_read2_b64 v[5:8], v15 offset0:128 offset1:144
	s_waitcnt lgkmcnt(0)
	v_fma_f64 v[5:6], v[23:24], v[5:6], v[19:20]
	;; [unrolled: 10-line block ×3, first 2 shown]
	v_fma_f64 v[23:24], v[25:26], v[7:8], v[5:6]
	ds_read_b128 v[5:8], v12 offset:112
	ds_read2_b64 v[19:22], v15 offset0:224 offset1:240
	s_waitcnt lgkmcnt(0)
	v_fma_f64 v[5:6], v[5:6], v[19:20], v[23:24]
	v_fma_f64 v[5:6], v[7:8], v[21:22], v[5:6]
	ds_write_b64 v9, v[5:6]
	s_waitcnt lgkmcnt(0)
	s_barrier
	s_cbranch_scc1 .LBB1_7
.LBB1_3:                                ; =>This Inner Loop Header: Depth=1
	v_cmp_gt_i32_e64 s[2:3], s16, v18
	v_mov_b32_e32 v5, 0
	v_mov_b32_e32 v7, 0
	v_mov_b32_e32 v6, 0
	v_mov_b32_e32 v8, 0
	s_and_b64 s[2:3], vcc, s[2:3]
	s_and_saveexec_b64 s[14:15], s[2:3]
	s_cbranch_execz .LBB1_5
; %bb.4:                                ;   in Loop: Header=BB1_3 Depth=1
	v_add_u32_e32 v2, v14, v18
	v_lshlrev_b64 v[7:8], 3, v[2:3]
	v_mov_b32_e32 v2, s11
	v_add_co_u32_e64 v7, s[2:3], s10, v7
	v_addc_co_u32_e64 v8, s[2:3], v2, v8, s[2:3]
	global_load_dwordx2 v[7:8], v[7:8], off
.LBB1_5:                                ;   in Loop: Header=BB1_3 Depth=1
	s_or_b64 exec, exec, s[14:15]
	v_cmp_gt_i32_e64 s[2:3], s16, v17
	s_and_b64 s[2:3], s[0:1], s[2:3]
	s_waitcnt vmcnt(0)
	ds_write_b64 v13, v[7:8]
	s_and_saveexec_b64 s[14:15], s[2:3]
	s_cbranch_execz .LBB1_2
; %bb.6:                                ;   in Loop: Header=BB1_3 Depth=1
	v_mov_b32_e32 v5, v3
	v_lshlrev_b64 v[5:6], 3, v[4:5]
	v_mov_b32_e32 v2, s13
	v_add_co_u32_e64 v5, s[2:3], s12, v5
	v_addc_co_u32_e64 v6, s[2:3], v2, v6, s[2:3]
	global_load_dwordx2 v[5:6], v[5:6], off
	s_branch .LBB1_2
.LBB1_7:
	v_max_i32_e32 v2, v10, v11
	v_cmp_gt_i32_e32 vcc, s16, v2
	s_and_saveexec_b64 s[0:1], vcc
	s_cbranch_execz .LBB1_9
; %bb.8:
	s_load_dword s0, s[4:5], 0x2c
	ds_read_b64 v[2:3], v9
	v_mov_b32_e32 v5, 0
	v_mov_b32_e32 v6, s9
	s_waitcnt lgkmcnt(0)
	s_lshr_b32 s1, s0, 16
	s_mul_i32 s7, s7, s1
	v_add_u32_e32 v1, s7, v1
	v_mul_lo_u32 v1, v1, s16
	s_and_b32 s0, s0, 0xffff
	s_mul_i32 s6, s6, s0
	v_add3_u32 v4, s6, v0, v1
	v_lshlrev_b64 v[0:1], 3, v[4:5]
	v_add_co_u32_e32 v0, vcc, s8, v0
	v_addc_co_u32_e32 v1, vcc, v6, v1, vcc
	global_store_dwordx2 v[0:1], v[2:3], off
.LBB1_9:
	s_endpgm
	.section	.rodata,"a",@progbits
	.p2align	6, 0x0
	.amdhsa_kernel _Z19sharedMatMultKerneliPdS_S_
		.amdhsa_group_segment_fixed_size 6144
		.amdhsa_private_segment_fixed_size 0
		.amdhsa_kernarg_size 288
		.amdhsa_user_sgpr_count 6
		.amdhsa_user_sgpr_private_segment_buffer 1
		.amdhsa_user_sgpr_dispatch_ptr 0
		.amdhsa_user_sgpr_queue_ptr 0
		.amdhsa_user_sgpr_kernarg_segment_ptr 1
		.amdhsa_user_sgpr_dispatch_id 0
		.amdhsa_user_sgpr_flat_scratch_init 0
		.amdhsa_user_sgpr_private_segment_size 0
		.amdhsa_uses_dynamic_stack 0
		.amdhsa_system_sgpr_private_segment_wavefront_offset 0
		.amdhsa_system_sgpr_workgroup_id_x 1
		.amdhsa_system_sgpr_workgroup_id_y 1
		.amdhsa_system_sgpr_workgroup_id_z 0
		.amdhsa_system_sgpr_workgroup_info 0
		.amdhsa_system_vgpr_workitem_id 1
		.amdhsa_next_free_vgpr 29
		.amdhsa_next_free_sgpr 61
		.amdhsa_reserve_vcc 1
		.amdhsa_reserve_flat_scratch 0
		.amdhsa_float_round_mode_32 0
		.amdhsa_float_round_mode_16_64 0
		.amdhsa_float_denorm_mode_32 3
		.amdhsa_float_denorm_mode_16_64 3
		.amdhsa_dx10_clamp 1
		.amdhsa_ieee_mode 1
		.amdhsa_fp16_overflow 0
		.amdhsa_exception_fp_ieee_invalid_op 0
		.amdhsa_exception_fp_denorm_src 0
		.amdhsa_exception_fp_ieee_div_zero 0
		.amdhsa_exception_fp_ieee_overflow 0
		.amdhsa_exception_fp_ieee_underflow 0
		.amdhsa_exception_fp_ieee_inexact 0
		.amdhsa_exception_int_div_zero 0
	.end_amdhsa_kernel
	.text
.Lfunc_end1:
	.size	_Z19sharedMatMultKerneliPdS_S_, .Lfunc_end1-_Z19sharedMatMultKerneliPdS_S_
                                        ; -- End function
	.set _Z19sharedMatMultKerneliPdS_S_.num_vgpr, 29
	.set _Z19sharedMatMultKerneliPdS_S_.num_agpr, 0
	.set _Z19sharedMatMultKerneliPdS_S_.numbered_sgpr, 19
	.set _Z19sharedMatMultKerneliPdS_S_.num_named_barrier, 0
	.set _Z19sharedMatMultKerneliPdS_S_.private_seg_size, 0
	.set _Z19sharedMatMultKerneliPdS_S_.uses_vcc, 1
	.set _Z19sharedMatMultKerneliPdS_S_.uses_flat_scratch, 0
	.set _Z19sharedMatMultKerneliPdS_S_.has_dyn_sized_stack, 0
	.set _Z19sharedMatMultKerneliPdS_S_.has_recursion, 0
	.set _Z19sharedMatMultKerneliPdS_S_.has_indirect_call, 0
	.section	.AMDGPU.csdata,"",@progbits
; Kernel info:
; codeLenInByte = 796
; TotalNumSgprs: 23
; NumVgprs: 29
; ScratchSize: 0
; MemoryBound: 0
; FloatMode: 240
; IeeeMode: 1
; LDSByteSize: 6144 bytes/workgroup (compile time only)
; SGPRBlocks: 8
; VGPRBlocks: 7
; NumSGPRsForWavesPerEU: 65
; NumVGPRsForWavesPerEU: 29
; Occupancy: 8
; WaveLimiterHint : 0
; COMPUTE_PGM_RSRC2:SCRATCH_EN: 0
; COMPUTE_PGM_RSRC2:USER_SGPR: 6
; COMPUTE_PGM_RSRC2:TRAP_HANDLER: 0
; COMPUTE_PGM_RSRC2:TGID_X_EN: 1
; COMPUTE_PGM_RSRC2:TGID_Y_EN: 1
; COMPUTE_PGM_RSRC2:TGID_Z_EN: 0
; COMPUTE_PGM_RSRC2:TIDIG_COMP_CNT: 1
	.section	.text._ZN4RAJA28launch_new_reduce_global_fcnIZ4mainEUlNS_14LaunchContextTINS_3hip33LaunchContextIndicesAndDimsPolicyINS2_14IndicesAndDimsILb0ELb0ELb0ELb0EEEEEEEE_NS_4expt15ForallParamPackIJEEEEEvT_T0_,"axG",@progbits,_ZN4RAJA28launch_new_reduce_global_fcnIZ4mainEUlNS_14LaunchContextTINS_3hip33LaunchContextIndicesAndDimsPolicyINS2_14IndicesAndDimsILb0ELb0ELb0ELb0EEEEEEEE_NS_4expt15ForallParamPackIJEEEEEvT_T0_,comdat
	.globl	_ZN4RAJA28launch_new_reduce_global_fcnIZ4mainEUlNS_14LaunchContextTINS_3hip33LaunchContextIndicesAndDimsPolicyINS2_14IndicesAndDimsILb0ELb0ELb0ELb0EEEEEEEE_NS_4expt15ForallParamPackIJEEEEEvT_T0_ ; -- Begin function _ZN4RAJA28launch_new_reduce_global_fcnIZ4mainEUlNS_14LaunchContextTINS_3hip33LaunchContextIndicesAndDimsPolicyINS2_14IndicesAndDimsILb0ELb0ELb0ELb0EEEEEEEE_NS_4expt15ForallParamPackIJEEEEEvT_T0_
	.p2align	8
	.type	_ZN4RAJA28launch_new_reduce_global_fcnIZ4mainEUlNS_14LaunchContextTINS_3hip33LaunchContextIndicesAndDimsPolicyINS2_14IndicesAndDimsILb0ELb0ELb0ELb0EEEEEEEE_NS_4expt15ForallParamPackIJEEEEEvT_T0_,@function
_ZN4RAJA28launch_new_reduce_global_fcnIZ4mainEUlNS_14LaunchContextTINS_3hip33LaunchContextIndicesAndDimsPolicyINS2_14IndicesAndDimsILb0ELb0ELb0ELb0EEEEEEEE_NS_4expt15ForallParamPackIJEEEEEvT_T0_: ; @_ZN4RAJA28launch_new_reduce_global_fcnIZ4mainEUlNS_14LaunchContextTINS_3hip33LaunchContextIndicesAndDimsPolicyINS2_14IndicesAndDimsILb0ELb0ELb0ELb0EEEEEEEE_NS_4expt15ForallParamPackIJEEEEEvT_T0_
; %bb.0:
	s_load_dwordx4 s[0:3], s[4:5], 0x0
	s_load_dword s10, s[4:5], 0x10c
	v_mov_b32_e32 v2, v1
	v_mov_b32_e32 v1, 0
	;; [unrolled: 1-line block ×3, first 2 shown]
	s_waitcnt lgkmcnt(0)
	s_sub_u32 s8, s2, s0
	s_subb_u32 s9, s3, s1
	s_add_u32 s2, s4, 0x100
	s_addc_u32 s3, s5, 0
	s_lshr_b32 s1, s10, 16
	v_mov_b32_e32 v4, s7
	v_mad_u64_u32 v[2:3], s[10:11], s1, v4, v[2:3]
	v_cmp_gt_i64_e32 vcc, s[8:9], v[2:3]
	s_and_saveexec_b64 s[8:9], vcc
	s_cbranch_execz .LBB2_5
; %bb.1:
	s_load_dwordx4 s[8:11], s[4:5], 0x10
	s_load_dword s1, s[2:3], 0xc
	v_mov_b32_e32 v3, s6
	s_waitcnt lgkmcnt(0)
	s_sub_u32 s2, s10, s8
	s_subb_u32 s3, s11, s9
	s_and_b32 s1, s1, 0xffff
	v_mad_u64_u32 v[0:1], s[6:7], s1, v3, v[0:1]
	v_cmp_gt_i64_e32 vcc, s[2:3], v[0:1]
	s_and_b64 exec, exec, vcc
	s_cbranch_execz .LBB2_5
; %bb.2:
	s_load_dwordx2 s[6:7], s[4:5], 0x20
	s_load_dwordx4 s[12:15], s[4:5], 0x38
	s_load_dwordx2 s[20:21], s[4:5], 0x68
	s_load_dwordx4 s[16:19], s[4:5], 0x80
	v_add_u32_e32 v6, s8, v0
	v_ashrrev_i32_e32 v7, 31, v6
	s_waitcnt lgkmcnt(0)
	v_mul_lo_u32 v3, v7, s12
	v_mul_lo_u32 v4, v6, s13
	v_mad_u64_u32 v[0:1], s[2:3], v6, s12, 0
	v_add_u32_e32 v8, s0, v2
	v_ashrrev_i32_e32 v9, 31, v8
	v_add3_u32 v1, v1, v4, v3
	v_mul_lo_u32 v5, v9, s18
	v_mul_lo_u32 v10, v8, s19
	v_mad_u64_u32 v[2:3], s[0:1], v8, s18, 0
	v_lshlrev_b64 v[0:1], 3, v[0:1]
	s_load_dwordx2 s[2:3], s[4:5], 0xb0
	s_load_dwordx4 s[8:11], s[4:5], 0xc8
	v_add3_u32 v3, v3, v10, v5
	v_mov_b32_e32 v4, s7
	v_add_co_u32_e32 v0, vcc, s6, v0
	v_lshlrev_b64 v[2:3], 3, v[2:3]
	v_addc_co_u32_e32 v1, vcc, v4, v1, vcc
	s_mul_i32 s0, s17, 24
	s_mul_hi_u32 s1, s16, 24
	v_mov_b32_e32 v4, s21
	v_add_co_u32_e32 v2, vcc, s20, v2
	s_add_i32 s20, s1, s0
	s_mul_i32 s0, s15, 24
	s_mul_hi_u32 s1, s14, 24
	v_addc_co_u32_e32 v3, vcc, v4, v3, vcc
	s_mul_i32 s21, s16, 24
	s_lshl_b64 s[4:5], s[16:17], 5
	s_add_i32 s0, s1, s0
	s_mul_i32 s22, s14, 24
	s_lshl_b64 s[6:7], s[14:15], 5
	s_lshl_b64 s[12:13], s[16:17], 4
	;; [unrolled: 1-line block ×5, first 2 shown]
	v_mov_b32_e32 v4, 0
	v_mov_b32_e32 v5, 0
	s_movk_i32 s23, 0x3e8
	v_mov_b32_e32 v10, s15
	v_mov_b32_e32 v11, s17
	;; [unrolled: 1-line block ×5, first 2 shown]
.LBB2_3:                                ; =>This Inner Loop Header: Depth=1
	global_load_dwordx2 v[15:16], v[0:1], off
	global_load_dwordx2 v[17:18], v[2:3], off
	s_add_i32 s23, s23, -4
	s_cmp_lg_u32 s23, 0
	s_waitcnt vmcnt(0)
	v_fma_f64 v[4:5], v[15:16], v[17:18], v[4:5]
	v_add_co_u32_e32 v15, vcc, s14, v0
	v_addc_co_u32_e32 v16, vcc, v1, v10, vcc
	v_add_co_u32_e32 v17, vcc, s16, v2
	v_addc_co_u32_e32 v18, vcc, v3, v11, vcc
	global_load_dwordx2 v[19:20], v[15:16], off
	global_load_dwordx2 v[21:22], v[17:18], off
	v_add_co_u32_e32 v15, vcc, s18, v0
	v_addc_co_u32_e32 v16, vcc, v1, v12, vcc
	v_add_co_u32_e32 v17, vcc, s12, v2
	v_addc_co_u32_e32 v18, vcc, v3, v13, vcc
	s_waitcnt vmcnt(0)
	v_fma_f64 v[4:5], v[19:20], v[21:22], v[4:5]
	global_load_dwordx2 v[19:20], v[15:16], off
	global_load_dwordx2 v[21:22], v[17:18], off
	v_mov_b32_e32 v16, s20
	v_add_co_u32_e32 v15, vcc, s21, v2
	v_addc_co_u32_e32 v16, vcc, v3, v16, vcc
	v_add_co_u32_e32 v17, vcc, s22, v0
	v_addc_co_u32_e32 v18, vcc, v1, v14, vcc
	v_add_co_u32_e32 v0, vcc, s6, v0
	v_add_co_u32_e64 v2, s[0:1], s4, v2
	s_waitcnt vmcnt(0)
	v_fma_f64 v[4:5], v[19:20], v[21:22], v[4:5]
	global_load_dwordx2 v[19:20], v[17:18], off
	global_load_dwordx2 v[21:22], v[15:16], off
	v_mov_b32_e32 v15, s5
	v_mov_b32_e32 v16, s7
	v_addc_co_u32_e64 v3, s[0:1], v3, v15, s[0:1]
	v_addc_co_u32_e32 v1, vcc, v1, v16, vcc
	s_waitcnt vmcnt(0)
	v_fma_f64 v[4:5], v[19:20], v[21:22], v[4:5]
	s_cbranch_scc1 .LBB2_3
; %bb.4:
	s_waitcnt lgkmcnt(0)
	v_mul_lo_u32 v10, v6, s9
	v_mad_u64_u32 v[0:1], s[0:1], v6, s8, 0
	v_mul_lo_u32 v6, v9, s10
	v_mul_lo_u32 v9, v8, s11
	v_mad_u64_u32 v[2:3], s[0:1], v8, s10, 0
	v_mul_lo_u32 v7, v7, s8
	v_add3_u32 v3, v3, v9, v6
	v_lshlrev_b64 v[2:3], 3, v[2:3]
	v_add3_u32 v1, v1, v10, v7
	v_mov_b32_e32 v6, s3
	v_add_co_u32_e32 v2, vcc, s2, v2
	v_lshlrev_b64 v[0:1], 3, v[0:1]
	v_addc_co_u32_e32 v3, vcc, v6, v3, vcc
	v_add_co_u32_e32 v0, vcc, v2, v0
	v_addc_co_u32_e32 v1, vcc, v3, v1, vcc
	global_store_dwordx2 v[0:1], v[4:5], off
.LBB2_5:
	s_endpgm
	.section	.rodata,"a",@progbits
	.p2align	6, 0x0
	.amdhsa_kernel _ZN4RAJA28launch_new_reduce_global_fcnIZ4mainEUlNS_14LaunchContextTINS_3hip33LaunchContextIndicesAndDimsPolicyINS2_14IndicesAndDimsILb0ELb0ELb0ELb0EEEEEEEE_NS_4expt15ForallParamPackIJEEEEEvT_T0_
		.amdhsa_group_segment_fixed_size 0
		.amdhsa_private_segment_fixed_size 0
		.amdhsa_kernarg_size 512
		.amdhsa_user_sgpr_count 6
		.amdhsa_user_sgpr_private_segment_buffer 1
		.amdhsa_user_sgpr_dispatch_ptr 0
		.amdhsa_user_sgpr_queue_ptr 0
		.amdhsa_user_sgpr_kernarg_segment_ptr 1
		.amdhsa_user_sgpr_dispatch_id 0
		.amdhsa_user_sgpr_flat_scratch_init 0
		.amdhsa_user_sgpr_private_segment_size 0
		.amdhsa_uses_dynamic_stack 0
		.amdhsa_system_sgpr_private_segment_wavefront_offset 0
		.amdhsa_system_sgpr_workgroup_id_x 1
		.amdhsa_system_sgpr_workgroup_id_y 1
		.amdhsa_system_sgpr_workgroup_id_z 0
		.amdhsa_system_sgpr_workgroup_info 0
		.amdhsa_system_vgpr_workitem_id 1
		.amdhsa_next_free_vgpr 23
		.amdhsa_next_free_sgpr 24
		.amdhsa_reserve_vcc 1
		.amdhsa_reserve_flat_scratch 0
		.amdhsa_float_round_mode_32 0
		.amdhsa_float_round_mode_16_64 0
		.amdhsa_float_denorm_mode_32 3
		.amdhsa_float_denorm_mode_16_64 3
		.amdhsa_dx10_clamp 1
		.amdhsa_ieee_mode 1
		.amdhsa_fp16_overflow 0
		.amdhsa_exception_fp_ieee_invalid_op 0
		.amdhsa_exception_fp_denorm_src 0
		.amdhsa_exception_fp_ieee_div_zero 0
		.amdhsa_exception_fp_ieee_overflow 0
		.amdhsa_exception_fp_ieee_underflow 0
		.amdhsa_exception_fp_ieee_inexact 0
		.amdhsa_exception_int_div_zero 0
	.end_amdhsa_kernel
	.section	.text._ZN4RAJA28launch_new_reduce_global_fcnIZ4mainEUlNS_14LaunchContextTINS_3hip33LaunchContextIndicesAndDimsPolicyINS2_14IndicesAndDimsILb0ELb0ELb0ELb0EEEEEEEE_NS_4expt15ForallParamPackIJEEEEEvT_T0_,"axG",@progbits,_ZN4RAJA28launch_new_reduce_global_fcnIZ4mainEUlNS_14LaunchContextTINS_3hip33LaunchContextIndicesAndDimsPolicyINS2_14IndicesAndDimsILb0ELb0ELb0ELb0EEEEEEEE_NS_4expt15ForallParamPackIJEEEEEvT_T0_,comdat
.Lfunc_end2:
	.size	_ZN4RAJA28launch_new_reduce_global_fcnIZ4mainEUlNS_14LaunchContextTINS_3hip33LaunchContextIndicesAndDimsPolicyINS2_14IndicesAndDimsILb0ELb0ELb0ELb0EEEEEEEE_NS_4expt15ForallParamPackIJEEEEEvT_T0_, .Lfunc_end2-_ZN4RAJA28launch_new_reduce_global_fcnIZ4mainEUlNS_14LaunchContextTINS_3hip33LaunchContextIndicesAndDimsPolicyINS2_14IndicesAndDimsILb0ELb0ELb0ELb0EEEEEEEE_NS_4expt15ForallParamPackIJEEEEEvT_T0_
                                        ; -- End function
	.set _ZN4RAJA28launch_new_reduce_global_fcnIZ4mainEUlNS_14LaunchContextTINS_3hip33LaunchContextIndicesAndDimsPolicyINS2_14IndicesAndDimsILb0ELb0ELb0ELb0EEEEEEEE_NS_4expt15ForallParamPackIJEEEEEvT_T0_.num_vgpr, 23
	.set _ZN4RAJA28launch_new_reduce_global_fcnIZ4mainEUlNS_14LaunchContextTINS_3hip33LaunchContextIndicesAndDimsPolicyINS2_14IndicesAndDimsILb0ELb0ELb0ELb0EEEEEEEE_NS_4expt15ForallParamPackIJEEEEEvT_T0_.num_agpr, 0
	.set _ZN4RAJA28launch_new_reduce_global_fcnIZ4mainEUlNS_14LaunchContextTINS_3hip33LaunchContextIndicesAndDimsPolicyINS2_14IndicesAndDimsILb0ELb0ELb0ELb0EEEEEEEE_NS_4expt15ForallParamPackIJEEEEEvT_T0_.numbered_sgpr, 24
	.set _ZN4RAJA28launch_new_reduce_global_fcnIZ4mainEUlNS_14LaunchContextTINS_3hip33LaunchContextIndicesAndDimsPolicyINS2_14IndicesAndDimsILb0ELb0ELb0ELb0EEEEEEEE_NS_4expt15ForallParamPackIJEEEEEvT_T0_.num_named_barrier, 0
	.set _ZN4RAJA28launch_new_reduce_global_fcnIZ4mainEUlNS_14LaunchContextTINS_3hip33LaunchContextIndicesAndDimsPolicyINS2_14IndicesAndDimsILb0ELb0ELb0ELb0EEEEEEEE_NS_4expt15ForallParamPackIJEEEEEvT_T0_.private_seg_size, 0
	.set _ZN4RAJA28launch_new_reduce_global_fcnIZ4mainEUlNS_14LaunchContextTINS_3hip33LaunchContextIndicesAndDimsPolicyINS2_14IndicesAndDimsILb0ELb0ELb0ELb0EEEEEEEE_NS_4expt15ForallParamPackIJEEEEEvT_T0_.uses_vcc, 1
	.set _ZN4RAJA28launch_new_reduce_global_fcnIZ4mainEUlNS_14LaunchContextTINS_3hip33LaunchContextIndicesAndDimsPolicyINS2_14IndicesAndDimsILb0ELb0ELb0ELb0EEEEEEEE_NS_4expt15ForallParamPackIJEEEEEvT_T0_.uses_flat_scratch, 0
	.set _ZN4RAJA28launch_new_reduce_global_fcnIZ4mainEUlNS_14LaunchContextTINS_3hip33LaunchContextIndicesAndDimsPolicyINS2_14IndicesAndDimsILb0ELb0ELb0ELb0EEEEEEEE_NS_4expt15ForallParamPackIJEEEEEvT_T0_.has_dyn_sized_stack, 0
	.set _ZN4RAJA28launch_new_reduce_global_fcnIZ4mainEUlNS_14LaunchContextTINS_3hip33LaunchContextIndicesAndDimsPolicyINS2_14IndicesAndDimsILb0ELb0ELb0ELb0EEEEEEEE_NS_4expt15ForallParamPackIJEEEEEvT_T0_.has_recursion, 0
	.set _ZN4RAJA28launch_new_reduce_global_fcnIZ4mainEUlNS_14LaunchContextTINS_3hip33LaunchContextIndicesAndDimsPolicyINS2_14IndicesAndDimsILb0ELb0ELb0ELb0EEEEEEEE_NS_4expt15ForallParamPackIJEEEEEvT_T0_.has_indirect_call, 0
	.section	.AMDGPU.csdata,"",@progbits
; Kernel info:
; codeLenInByte = 724
; TotalNumSgprs: 28
; NumVgprs: 23
; ScratchSize: 0
; MemoryBound: 1
; FloatMode: 240
; IeeeMode: 1
; LDSByteSize: 0 bytes/workgroup (compile time only)
; SGPRBlocks: 3
; VGPRBlocks: 5
; NumSGPRsForWavesPerEU: 28
; NumVGPRsForWavesPerEU: 23
; Occupancy: 10
; WaveLimiterHint : 0
; COMPUTE_PGM_RSRC2:SCRATCH_EN: 0
; COMPUTE_PGM_RSRC2:USER_SGPR: 6
; COMPUTE_PGM_RSRC2:TRAP_HANDLER: 0
; COMPUTE_PGM_RSRC2:TGID_X_EN: 1
; COMPUTE_PGM_RSRC2:TGID_Y_EN: 1
; COMPUTE_PGM_RSRC2:TGID_Z_EN: 0
; COMPUTE_PGM_RSRC2:TIDIG_COMP_CNT: 1
	.section	.text._ZN4RAJA28launch_new_reduce_global_fcnIZ4mainEUlNS_14LaunchContextTINS_3hip33LaunchContextIndicesAndDimsPolicyINS2_14IndicesAndDimsILb0ELb0ELb0ELb0EEEEEEEE0_NS_4expt15ForallParamPackIJEEEEEvT_T0_,"axG",@progbits,_ZN4RAJA28launch_new_reduce_global_fcnIZ4mainEUlNS_14LaunchContextTINS_3hip33LaunchContextIndicesAndDimsPolicyINS2_14IndicesAndDimsILb0ELb0ELb0ELb0EEEEEEEE0_NS_4expt15ForallParamPackIJEEEEEvT_T0_,comdat
	.globl	_ZN4RAJA28launch_new_reduce_global_fcnIZ4mainEUlNS_14LaunchContextTINS_3hip33LaunchContextIndicesAndDimsPolicyINS2_14IndicesAndDimsILb0ELb0ELb0ELb0EEEEEEEE0_NS_4expt15ForallParamPackIJEEEEEvT_T0_ ; -- Begin function _ZN4RAJA28launch_new_reduce_global_fcnIZ4mainEUlNS_14LaunchContextTINS_3hip33LaunchContextIndicesAndDimsPolicyINS2_14IndicesAndDimsILb0ELb0ELb0ELb0EEEEEEEE0_NS_4expt15ForallParamPackIJEEEEEvT_T0_
	.p2align	8
	.type	_ZN4RAJA28launch_new_reduce_global_fcnIZ4mainEUlNS_14LaunchContextTINS_3hip33LaunchContextIndicesAndDimsPolicyINS2_14IndicesAndDimsILb0ELb0ELb0ELb0EEEEEEEE0_NS_4expt15ForallParamPackIJEEEEEvT_T0_,@function
_ZN4RAJA28launch_new_reduce_global_fcnIZ4mainEUlNS_14LaunchContextTINS_3hip33LaunchContextIndicesAndDimsPolicyINS2_14IndicesAndDimsILb0ELb0ELb0ELb0EEEEEEEE0_NS_4expt15ForallParamPackIJEEEEEvT_T0_: ; @_ZN4RAJA28launch_new_reduce_global_fcnIZ4mainEUlNS_14LaunchContextTINS_3hip33LaunchContextIndicesAndDimsPolicyINS2_14IndicesAndDimsILb0ELb0ELb0ELb0EEEEEEEE0_NS_4expt15ForallParamPackIJEEEEEvT_T0_
; %bb.0:
	s_load_dwordx4 s[16:19], s[4:5], 0x0
	v_mov_b32_e32 v1, 0
	v_mov_b32_e32 v2, s6
	;; [unrolled: 1-line block ×3, first 2 shown]
	s_waitcnt lgkmcnt(0)
	s_sub_u32 s0, s18, s16
	s_subb_u32 s1, s19, s17
	v_cmp_le_i64_e32 vcc, s[0:1], v[2:3]
	s_cbranch_vccnz .LBB3_6
; %bb.1:
	s_load_dwordx4 s[8:11], s[4:5], 0x10
	s_waitcnt lgkmcnt(0)
	s_sub_u32 s10, s10, s8
	s_subb_u32 s11, s11, s9
	v_cmp_gt_i64_e32 vcc, s[10:11], v[0:1]
	s_and_saveexec_b64 s[0:1], vcc
	s_cbranch_execz .LBB3_6
; %bb.2:
	s_load_dwordx2 s[26:27], s[4:5], 0x20
	s_load_dwordx4 s[0:3], s[4:5], 0x38
	s_load_dword s7, s[4:5], 0x10c
	s_load_dwordx2 s[18:19], s[4:5], 0x68
	s_load_dwordx4 s[20:23], s[4:5], 0x80
	s_load_dwordx2 s[24:25], s[4:5], 0xb0
	s_load_dwordx4 s[12:15], s[4:5], 0xc8
	s_add_i32 s6, s6, s16
	s_waitcnt lgkmcnt(0)
	s_and_b32 s9, s7, 0xffff
	s_ashr_i32 s7, s6, 31
	s_mul_i32 s4, s22, s7
	s_mul_hi_u32 s5, s22, s6
	s_add_i32 s4, s5, s4
	s_mul_i32 s5, s23, s6
	s_add_i32 s5, s4, s5
	s_mul_i32 s4, s22, s6
	s_lshl_b64 s[4:5], s[4:5], 3
	s_add_u32 s4, s18, s4
	s_mul_i32 s7, s14, s7
	s_mul_hi_u32 s16, s14, s6
	s_addc_u32 s5, s19, s5
	s_add_i32 s7, s16, s7
	s_mul_i32 s15, s15, s6
	s_add_i32 s7, s7, s15
	s_mul_i32 s6, s14, s6
	s_lshl_b64 s[6:7], s[6:7], 3
	s_add_u32 s28, s24, s6
	s_mul_i32 s14, s3, 24
	s_mul_hi_u32 s15, s2, 24
	s_addc_u32 s33, s25, s7
	s_mul_i32 s6, s21, 24
	s_mul_hi_u32 s7, s20, 24
	s_add_i32 s34, s15, s14
	s_mul_i32 s31, s2, 24
	s_lshl_b64 s[16:17], s[2:3], 5
	s_lshl_b64 s[22:23], s[2:3], 4
	;; [unrolled: 1-line block ×3, first 2 shown]
	v_mov_b32_e32 v2, s26
	v_mov_b32_e32 v5, v1
	s_add_i32 s29, s7, s6
	s_mul_i32 s30, s20, 24
	s_lshl_b64 s[6:7], s[20:21], 5
	s_lshl_b64 s[14:15], s[0:1], 3
	v_add_u32_e32 v10, s8, v0
	s_lshl_b64 s[18:19], s[20:21], 4
	s_lshl_b64 s[20:21], s[20:21], 3
	s_mov_b64 s[24:25], 0
	v_mov_b32_e32 v3, s27
	v_mov_b32_e32 v11, s3
	;; [unrolled: 1-line block ×7, first 2 shown]
.LBB3_3:                                ; =>This Loop Header: Depth=1
                                        ;     Child Loop BB3_4 Depth 2
	v_ashrrev_i32_e32 v0, 31, v10
	v_mad_u64_u32 v[8:9], s[0:1], s14, v10, v[2:3]
	v_mul_lo_u32 v6, s15, v10
	v_mul_lo_u32 v0, s14, v0
	s_movk_i32 s3, 0x3e8
	s_mov_b64 s[26:27], s[4:5]
	v_add3_u32 v9, v6, v9, v0
	v_mov_b32_e32 v6, 0
	v_mov_b32_e32 v7, 0
.LBB3_4:                                ;   Parent Loop BB3_3 Depth=1
                                        ; =>  This Inner Loop Header: Depth=2
	global_load_dwordx2 v[16:17], v[8:9], off
	global_load_dwordx2 v[18:19], v1, s[26:27]
	v_add_co_u32_e64 v21, s[0:1], s2, v8
	s_add_u32 s34, s26, s20
	v_addc_co_u32_e64 v22, s[0:1], v9, v11, s[0:1]
	s_addc_u32 s35, s27, s21
	global_load_dwordx2 v[23:24], v[21:22], off
	global_load_dwordx2 v[25:26], v1, s[34:35]
	v_add_co_u32_e32 v20, vcc, s22, v8
	s_add_u32 s0, s26, s18
	v_addc_co_u32_e32 v21, vcc, v9, v12, vcc
	s_addc_u32 s1, s27, s19
	global_load_dwordx2 v[20:21], v[20:21], off
	s_waitcnt vmcnt(3)
	v_fma_f64 v[6:7], v[16:17], v[18:19], v[6:7]
	global_load_dwordx2 v[27:28], v1, s[0:1]
	s_add_u32 s0, s26, s30
	v_add_co_u32_e32 v16, vcc, s31, v8
	s_addc_u32 s1, s27, s29
	v_addc_co_u32_e32 v17, vcc, v9, v13, vcc
	global_load_dwordx2 v[29:30], v1, s[0:1]
	s_waitcnt vmcnt(3)
	v_fma_f64 v[6:7], v[23:24], v[25:26], v[6:7]
	global_load_dwordx2 v[16:17], v[16:17], off
	s_add_u32 s26, s26, s6
	v_add_co_u32_e32 v8, vcc, s16, v8
	s_addc_u32 s27, s27, s7
	s_add_i32 s3, s3, -4
	s_cmp_lg_u32 s3, 0
	v_addc_co_u32_e32 v9, vcc, v9, v14, vcc
	s_waitcnt vmcnt(2)
	v_fma_f64 v[6:7], v[20:21], v[27:28], v[6:7]
	s_waitcnt vmcnt(0)
	v_fma_f64 v[6:7], v[16:17], v[29:30], v[6:7]
	s_cbranch_scc1 .LBB3_4
; %bb.5:                                ;   in Loop: Header=BB3_3 Depth=1
	v_add_u32_e32 v0, s8, v4
	v_ashrrev_i32_e32 v16, 31, v0
	v_mul_lo_u32 v17, v0, s13
	v_mad_u64_u32 v[8:9], s[0:1], v0, s12, 0
	v_mul_lo_u32 v0, v16, s12
	v_add_u32_e32 v10, s9, v10
	v_add3_u32 v9, v9, v17, v0
	v_lshlrev_b64 v[8:9], 3, v[8:9]
	v_add_co_u32_e32 v8, vcc, s28, v8
	v_addc_co_u32_e32 v9, vcc, v15, v9, vcc
	v_add_co_u32_e32 v4, vcc, s9, v4
	v_addc_co_u32_e32 v5, vcc, 0, v5, vcc
	v_cmp_le_i64_e32 vcc, s[10:11], v[4:5]
	global_store_dwordx2 v[8:9], v[6:7], off
	s_or_b64 s[24:25], vcc, s[24:25]
	s_andn2_b64 exec, exec, s[24:25]
	s_cbranch_execnz .LBB3_3
.LBB3_6:
	s_endpgm
	.section	.rodata,"a",@progbits
	.p2align	6, 0x0
	.amdhsa_kernel _ZN4RAJA28launch_new_reduce_global_fcnIZ4mainEUlNS_14LaunchContextTINS_3hip33LaunchContextIndicesAndDimsPolicyINS2_14IndicesAndDimsILb0ELb0ELb0ELb0EEEEEEEE0_NS_4expt15ForallParamPackIJEEEEEvT_T0_
		.amdhsa_group_segment_fixed_size 0
		.amdhsa_private_segment_fixed_size 0
		.amdhsa_kernarg_size 512
		.amdhsa_user_sgpr_count 6
		.amdhsa_user_sgpr_private_segment_buffer 1
		.amdhsa_user_sgpr_dispatch_ptr 0
		.amdhsa_user_sgpr_queue_ptr 0
		.amdhsa_user_sgpr_kernarg_segment_ptr 1
		.amdhsa_user_sgpr_dispatch_id 0
		.amdhsa_user_sgpr_flat_scratch_init 0
		.amdhsa_user_sgpr_private_segment_size 0
		.amdhsa_uses_dynamic_stack 0
		.amdhsa_system_sgpr_private_segment_wavefront_offset 0
		.amdhsa_system_sgpr_workgroup_id_x 1
		.amdhsa_system_sgpr_workgroup_id_y 0
		.amdhsa_system_sgpr_workgroup_id_z 0
		.amdhsa_system_sgpr_workgroup_info 0
		.amdhsa_system_vgpr_workitem_id 0
		.amdhsa_next_free_vgpr 31
		.amdhsa_next_free_sgpr 36
		.amdhsa_reserve_vcc 1
		.amdhsa_reserve_flat_scratch 0
		.amdhsa_float_round_mode_32 0
		.amdhsa_float_round_mode_16_64 0
		.amdhsa_float_denorm_mode_32 3
		.amdhsa_float_denorm_mode_16_64 3
		.amdhsa_dx10_clamp 1
		.amdhsa_ieee_mode 1
		.amdhsa_fp16_overflow 0
		.amdhsa_exception_fp_ieee_invalid_op 0
		.amdhsa_exception_fp_denorm_src 0
		.amdhsa_exception_fp_ieee_div_zero 0
		.amdhsa_exception_fp_ieee_overflow 0
		.amdhsa_exception_fp_ieee_underflow 0
		.amdhsa_exception_fp_ieee_inexact 0
		.amdhsa_exception_int_div_zero 0
	.end_amdhsa_kernel
	.section	.text._ZN4RAJA28launch_new_reduce_global_fcnIZ4mainEUlNS_14LaunchContextTINS_3hip33LaunchContextIndicesAndDimsPolicyINS2_14IndicesAndDimsILb0ELb0ELb0ELb0EEEEEEEE0_NS_4expt15ForallParamPackIJEEEEEvT_T0_,"axG",@progbits,_ZN4RAJA28launch_new_reduce_global_fcnIZ4mainEUlNS_14LaunchContextTINS_3hip33LaunchContextIndicesAndDimsPolicyINS2_14IndicesAndDimsILb0ELb0ELb0ELb0EEEEEEEE0_NS_4expt15ForallParamPackIJEEEEEvT_T0_,comdat
.Lfunc_end3:
	.size	_ZN4RAJA28launch_new_reduce_global_fcnIZ4mainEUlNS_14LaunchContextTINS_3hip33LaunchContextIndicesAndDimsPolicyINS2_14IndicesAndDimsILb0ELb0ELb0ELb0EEEEEEEE0_NS_4expt15ForallParamPackIJEEEEEvT_T0_, .Lfunc_end3-_ZN4RAJA28launch_new_reduce_global_fcnIZ4mainEUlNS_14LaunchContextTINS_3hip33LaunchContextIndicesAndDimsPolicyINS2_14IndicesAndDimsILb0ELb0ELb0ELb0EEEEEEEE0_NS_4expt15ForallParamPackIJEEEEEvT_T0_
                                        ; -- End function
	.set _ZN4RAJA28launch_new_reduce_global_fcnIZ4mainEUlNS_14LaunchContextTINS_3hip33LaunchContextIndicesAndDimsPolicyINS2_14IndicesAndDimsILb0ELb0ELb0ELb0EEEEEEEE0_NS_4expt15ForallParamPackIJEEEEEvT_T0_.num_vgpr, 31
	.set _ZN4RAJA28launch_new_reduce_global_fcnIZ4mainEUlNS_14LaunchContextTINS_3hip33LaunchContextIndicesAndDimsPolicyINS2_14IndicesAndDimsILb0ELb0ELb0ELb0EEEEEEEE0_NS_4expt15ForallParamPackIJEEEEEvT_T0_.num_agpr, 0
	.set _ZN4RAJA28launch_new_reduce_global_fcnIZ4mainEUlNS_14LaunchContextTINS_3hip33LaunchContextIndicesAndDimsPolicyINS2_14IndicesAndDimsILb0ELb0ELb0ELb0EEEEEEEE0_NS_4expt15ForallParamPackIJEEEEEvT_T0_.numbered_sgpr, 36
	.set _ZN4RAJA28launch_new_reduce_global_fcnIZ4mainEUlNS_14LaunchContextTINS_3hip33LaunchContextIndicesAndDimsPolicyINS2_14IndicesAndDimsILb0ELb0ELb0ELb0EEEEEEEE0_NS_4expt15ForallParamPackIJEEEEEvT_T0_.num_named_barrier, 0
	.set _ZN4RAJA28launch_new_reduce_global_fcnIZ4mainEUlNS_14LaunchContextTINS_3hip33LaunchContextIndicesAndDimsPolicyINS2_14IndicesAndDimsILb0ELb0ELb0ELb0EEEEEEEE0_NS_4expt15ForallParamPackIJEEEEEvT_T0_.private_seg_size, 0
	.set _ZN4RAJA28launch_new_reduce_global_fcnIZ4mainEUlNS_14LaunchContextTINS_3hip33LaunchContextIndicesAndDimsPolicyINS2_14IndicesAndDimsILb0ELb0ELb0ELb0EEEEEEEE0_NS_4expt15ForallParamPackIJEEEEEvT_T0_.uses_vcc, 1
	.set _ZN4RAJA28launch_new_reduce_global_fcnIZ4mainEUlNS_14LaunchContextTINS_3hip33LaunchContextIndicesAndDimsPolicyINS2_14IndicesAndDimsILb0ELb0ELb0ELb0EEEEEEEE0_NS_4expt15ForallParamPackIJEEEEEvT_T0_.uses_flat_scratch, 0
	.set _ZN4RAJA28launch_new_reduce_global_fcnIZ4mainEUlNS_14LaunchContextTINS_3hip33LaunchContextIndicesAndDimsPolicyINS2_14IndicesAndDimsILb0ELb0ELb0ELb0EEEEEEEE0_NS_4expt15ForallParamPackIJEEEEEvT_T0_.has_dyn_sized_stack, 0
	.set _ZN4RAJA28launch_new_reduce_global_fcnIZ4mainEUlNS_14LaunchContextTINS_3hip33LaunchContextIndicesAndDimsPolicyINS2_14IndicesAndDimsILb0ELb0ELb0ELb0EEEEEEEE0_NS_4expt15ForallParamPackIJEEEEEvT_T0_.has_recursion, 0
	.set _ZN4RAJA28launch_new_reduce_global_fcnIZ4mainEUlNS_14LaunchContextTINS_3hip33LaunchContextIndicesAndDimsPolicyINS2_14IndicesAndDimsILb0ELb0ELb0ELb0EEEEEEEE0_NS_4expt15ForallParamPackIJEEEEEvT_T0_.has_indirect_call, 0
	.section	.AMDGPU.csdata,"",@progbits
; Kernel info:
; codeLenInByte = 668
; TotalNumSgprs: 40
; NumVgprs: 31
; ScratchSize: 0
; MemoryBound: 1
; FloatMode: 240
; IeeeMode: 1
; LDSByteSize: 0 bytes/workgroup (compile time only)
; SGPRBlocks: 4
; VGPRBlocks: 7
; NumSGPRsForWavesPerEU: 40
; NumVGPRsForWavesPerEU: 31
; Occupancy: 8
; WaveLimiterHint : 0
; COMPUTE_PGM_RSRC2:SCRATCH_EN: 0
; COMPUTE_PGM_RSRC2:USER_SGPR: 6
; COMPUTE_PGM_RSRC2:TRAP_HANDLER: 0
; COMPUTE_PGM_RSRC2:TGID_X_EN: 1
; COMPUTE_PGM_RSRC2:TGID_Y_EN: 0
; COMPUTE_PGM_RSRC2:TGID_Z_EN: 0
; COMPUTE_PGM_RSRC2:TIDIG_COMP_CNT: 0
	.section	.text._ZN4RAJA28launch_new_reduce_global_fcnIZ4mainEUlNS_14LaunchContextTINS_3hip33LaunchContextIndicesAndDimsPolicyINS2_14IndicesAndDimsILb0ELb0ELb0ELb0EEEEEEEE1_NS_4expt15ForallParamPackIJEEEEEvT_T0_,"axG",@progbits,_ZN4RAJA28launch_new_reduce_global_fcnIZ4mainEUlNS_14LaunchContextTINS_3hip33LaunchContextIndicesAndDimsPolicyINS2_14IndicesAndDimsILb0ELb0ELb0ELb0EEEEEEEE1_NS_4expt15ForallParamPackIJEEEEEvT_T0_,comdat
	.globl	_ZN4RAJA28launch_new_reduce_global_fcnIZ4mainEUlNS_14LaunchContextTINS_3hip33LaunchContextIndicesAndDimsPolicyINS2_14IndicesAndDimsILb0ELb0ELb0ELb0EEEEEEEE1_NS_4expt15ForallParamPackIJEEEEEvT_T0_ ; -- Begin function _ZN4RAJA28launch_new_reduce_global_fcnIZ4mainEUlNS_14LaunchContextTINS_3hip33LaunchContextIndicesAndDimsPolicyINS2_14IndicesAndDimsILb0ELb0ELb0ELb0EEEEEEEE1_NS_4expt15ForallParamPackIJEEEEEvT_T0_
	.p2align	8
	.type	_ZN4RAJA28launch_new_reduce_global_fcnIZ4mainEUlNS_14LaunchContextTINS_3hip33LaunchContextIndicesAndDimsPolicyINS2_14IndicesAndDimsILb0ELb0ELb0ELb0EEEEEEEE1_NS_4expt15ForallParamPackIJEEEEEvT_T0_,@function
_ZN4RAJA28launch_new_reduce_global_fcnIZ4mainEUlNS_14LaunchContextTINS_3hip33LaunchContextIndicesAndDimsPolicyINS2_14IndicesAndDimsILb0ELb0ELb0ELb0EEEEEEEE1_NS_4expt15ForallParamPackIJEEEEEvT_T0_: ; @_ZN4RAJA28launch_new_reduce_global_fcnIZ4mainEUlNS_14LaunchContextTINS_3hip33LaunchContextIndicesAndDimsPolicyINS2_14IndicesAndDimsILb0ELb0ELb0ELb0EEEEEEEE1_NS_4expt15ForallParamPackIJEEEEEvT_T0_
; %bb.0:
	s_load_dwordx8 s[8:15], s[4:5], 0x0
	s_mov_b32 s34, s7
	s_mov_b32 s7, 0
	;; [unrolled: 1-line block ×3, first 2 shown]
	s_waitcnt lgkmcnt(0)
	s_sub_u32 s0, s10, s8
	s_subb_u32 s1, s11, s9
	v_mov_b32_e32 v5, s1
	s_lshl_b64 s[2:3], s[34:35], 4
	v_mov_b32_e32 v4, s0
	v_cmp_ge_i64_e32 vcc, s[2:3], v[4:5]
	s_cbranch_vccnz .LBB4_10
; %bb.1:
	s_sub_u32 s16, s14, s12
	s_load_dwordx2 s[20:21], s[4:5], 0x20
	s_subb_u32 s17, s15, s13
	v_mov_b32_e32 v4, s16
	s_lshl_b64 s[0:1], s[6:7], 4
	v_mov_b32_e32 v5, s17
	v_cmp_ge_i64_e32 vcc, s[0:1], v[4:5]
	s_cbranch_vccnz .LBB4_10
; %bb.2:
	s_add_u32 s22, s8, s2
	s_addc_u32 s23, s9, s3
	s_add_u32 s2, s22, 16
	v_mov_b32_e32 v4, s10
	s_addc_u32 s3, s23, 0
	v_mov_b32_e32 v5, s11
	v_cmp_lt_i64_e32 vcc, s[2:3], v[4:5]
	v_mov_b32_e32 v2, 0
	s_and_b64 s[16:17], vcc, exec
	s_cselect_b32 s7, s3, s11
	s_cselect_b32 s9, s2, s10
	v_mov_b32_e32 v4, s9
	v_mov_b32_e32 v5, s7
	v_cmp_gt_i64_e32 vcc, s[22:23], v[4:5]
	v_mov_b32_e32 v3, v0
	s_and_b64 s[2:3], vcc, exec
	s_cselect_b32 s3, s22, s9
	s_cselect_b32 s2, s23, s7
	s_sub_u32 s10, s3, s22
	s_subb_u32 s11, s2, s23
	v_cmp_gt_i64_e32 vcc, s[10:11], v[1:2]
	s_and_saveexec_b64 s[2:3], vcc
	s_cbranch_execz .LBB4_10
; %bb.3:
	s_load_dword s7, s[4:5], 0x10c
	s_load_dwordx4 s[16:19], s[4:5], 0xc8
	s_add_u32 s24, s12, s0
	s_addc_u32 s25, s13, s1
	v_mov_b32_e32 v4, s14
	s_waitcnt lgkmcnt(0)
	s_lshr_b32 s23, s7, 16
	s_add_u32 s28, s24, 16
	v_mov_b32_e32 v5, s15
	s_addc_u32 s29, s25, 0
	v_cmp_lt_i64_e32 vcc, s[28:29], v[4:5]
	s_load_dwordx4 s[0:3], s[4:5], 0x38
	s_load_dwordx2 s[26:27], s[4:5], 0x68
	s_and_b64 s[30:31], vcc, exec
	s_cselect_b32 s9, s29, s15
	s_cselect_b32 s13, s28, s14
	v_mov_b32_e32 v4, s13
	v_mov_b32_e32 v5, s9
	v_cmp_gt_i64_e32 vcc, s[24:25], v[4:5]
	s_load_dwordx4 s[40:43], s[4:5], 0x80
	s_load_dwordx2 s[14:15], s[4:5], 0xb0
	s_and_b64 s[4:5], vcc, exec
	s_cselect_b32 s5, s24, s13
	s_cselect_b32 s4, s25, s9
	s_sub_u32 s28, s5, s24
	s_subb_u32 s29, s4, s25
	s_waitcnt lgkmcnt(0)
	s_mul_i32 s4, s41, 24
	s_mul_hi_u32 s5, s40, 24
	s_add_i32 s33, s5, s4
	s_lshl_b32 s4, s34, 4
	v_mov_b32_e32 v4, v2
	s_add_i32 s4, s8, s4
	s_lshl_b64 s[34:35], s[0:1], 3
	s_lshl_b32 s0, s6, 4
	v_cmp_gt_i64_e32 vcc, s[28:29], v[3:4]
	v_add_u32_e32 v0, s4, v1
	s_mul_i32 s4, s3, 24
	s_mul_hi_u32 s5, s2, 24
	s_add_i32 s0, s12, s0
	s_and_b32 s25, s7, 0xffff
	s_mul_i32 s50, s40, 24
	s_lshl_b64 s[30:31], s[42:43], 3
	s_lshl_b64 s[8:9], s[40:41], 5
	s_add_i32 s51, s5, s4
	s_mul_i32 s52, s2, 24
	v_add_u32_e32 v15, s0, v3
	s_lshl_b64 s[12:13], s[2:3], 5
	s_lshl_b64 s[36:37], s[40:41], 4
	;; [unrolled: 1-line block ×5, first 2 shown]
	s_mov_b64 s[44:45], 0
	s_branch .LBB4_5
.LBB4_4:                                ;   in Loop: Header=BB4_5 Depth=1
	s_or_b64 exec, exec, s[46:47]
	v_add_co_u32_e64 v1, s[0:1], s23, v1
	v_addc_co_u32_e64 v2, s[0:1], 0, v2, s[0:1]
	v_cmp_le_i64_e64 s[0:1], s[10:11], v[1:2]
	v_add_u32_e32 v0, s23, v0
	s_or_b64 s[44:45], s[0:1], s[44:45]
	s_andn2_b64 exec, exec, s[44:45]
	s_cbranch_execz .LBB4_10
.LBB4_5:                                ; =>This Loop Header: Depth=1
                                        ;     Child Loop BB4_7 Depth 2
                                        ;       Child Loop BB4_8 Depth 3
	s_and_saveexec_b64 s[46:47], vcc
	s_cbranch_execz .LBB4_4
; %bb.6:                                ;   in Loop: Header=BB4_5 Depth=1
	v_ashrrev_i32_e32 v7, 31, v0
	v_mul_lo_u32 v10, s30, v7
	v_add_u32_e32 v7, s22, v1
	v_ashrrev_i32_e32 v8, 31, v7
	v_mul_lo_u32 v11, v8, s18
	v_mul_lo_u32 v12, v7, s19
	v_mad_u64_u32 v[7:8], s[0:1], v7, s18, 0
	v_mov_b32_e32 v5, s26
	v_mov_b32_e32 v6, s27
	v_mad_u64_u32 v[5:6], s[0:1], s30, v0, v[5:6]
	v_mul_lo_u32 v9, s31, v0
	v_add3_u32 v8, v8, v12, v11
	v_lshlrev_b64 v[7:8], 3, v[7:8]
	s_mov_b64 s[48:49], 0
	v_add3_u32 v6, v9, v6, v10
	v_mov_b32_e32 v9, s15
	v_add_co_u32_e64 v16, s[0:1], s14, v7
	v_addc_co_u32_e64 v17, s[0:1], v9, v8, s[0:1]
	v_mov_b32_e32 v8, v4
	v_mov_b32_e32 v18, v15
	;; [unrolled: 1-line block ×3, first 2 shown]
.LBB4_7:                                ;   Parent Loop BB4_5 Depth=1
                                        ; =>  This Loop Header: Depth=2
                                        ;       Child Loop BB4_8 Depth 3
	v_mov_b32_e32 v9, s20
	v_ashrrev_i32_e32 v13, 31, v18
	v_mov_b32_e32 v10, s21
	v_mad_u64_u32 v[11:12], s[0:1], s34, v18, v[9:10]
	v_mul_lo_u32 v9, s35, v18
	v_mul_lo_u32 v10, s34, v13
	v_mov_b32_e32 v14, v6
	s_movk_i32 s53, 0x3e8
	v_mov_b32_e32 v13, v5
	v_add3_u32 v12, v9, v12, v10
	v_mov_b32_e32 v9, 0
	v_mov_b32_e32 v10, 0
.LBB4_8:                                ;   Parent Loop BB4_5 Depth=1
                                        ;     Parent Loop BB4_7 Depth=2
                                        ; =>    This Inner Loop Header: Depth=3
	global_load_dwordx2 v[19:20], v[11:12], off
	global_load_dwordx2 v[21:22], v[13:14], off
	v_mov_b32_e32 v24, s43
	v_mov_b32_e32 v26, s41
	v_add_co_u32_e64 v23, s[0:1], s40, v13
	v_add_co_u32_e64 v28, s[6:7], s42, v11
	v_addc_co_u32_e64 v29, s[6:7], v12, v24, s[6:7]
	v_addc_co_u32_e64 v24, s[0:1], v14, v26, s[0:1]
	global_load_dwordx2 v[29:30], v[28:29], off
	s_nop 0
	global_load_dwordx2 v[23:24], v[23:24], off
	v_mov_b32_e32 v32, s39
	v_mov_b32_e32 v33, s37
	v_add_co_u32_e64 v25, s[2:3], s36, v13
	v_add_co_u32_e64 v31, s[0:1], s38, v11
	v_addc_co_u32_e64 v32, s[0:1], v12, v32, s[0:1]
	v_addc_co_u32_e64 v26, s[0:1], v14, v33, s[2:3]
	global_load_dwordx2 v[31:32], v[31:32], off
	s_nop 0
	;; [unrolled: 9-line block ×3, first 2 shown]
	global_load_dwordx2 v[27:28], v[27:28], off
	v_add_co_u32_e64 v11, s[0:1], s12, v11
	s_add_i32 s53, s53, -4
	v_add_co_u32_e64 v13, s[2:3], s8, v13
	s_cmp_lg_u32 s53, 0
	s_waitcnt vmcnt(6)
	v_fma_f64 v[9:10], v[19:20], v[21:22], v[9:10]
	v_mov_b32_e32 v19, s9
	v_mov_b32_e32 v20, s13
	v_addc_co_u32_e64 v14, s[2:3], v14, v19, s[2:3]
	v_addc_co_u32_e64 v12, s[0:1], v12, v20, s[0:1]
	s_waitcnt vmcnt(4)
	v_fma_f64 v[9:10], v[29:30], v[23:24], v[9:10]
	s_waitcnt vmcnt(2)
	v_fma_f64 v[9:10], v[31:32], v[25:26], v[9:10]
	;; [unrolled: 2-line block ×3, first 2 shown]
	s_cbranch_scc1 .LBB4_8
; %bb.9:                                ;   in Loop: Header=BB4_7 Depth=2
	v_add_u32_e32 v11, s24, v7
	v_ashrrev_i32_e32 v13, 31, v11
	v_mul_lo_u32 v14, v11, s17
	v_mad_u64_u32 v[11:12], s[0:1], v11, s16, 0
	v_mul_lo_u32 v13, v13, s16
	v_add_u32_e32 v18, s25, v18
	v_add3_u32 v12, v12, v14, v13
	v_lshlrev_b64 v[11:12], 3, v[11:12]
	v_add_co_u32_e64 v11, s[0:1], v16, v11
	v_addc_co_u32_e64 v12, s[0:1], v17, v12, s[0:1]
	v_add_co_u32_e64 v7, s[0:1], s25, v7
	v_addc_co_u32_e64 v8, s[0:1], 0, v8, s[0:1]
	v_cmp_le_i64_e64 s[0:1], s[28:29], v[7:8]
	global_store_dwordx2 v[11:12], v[9:10], off
	s_or_b64 s[48:49], s[0:1], s[48:49]
	s_andn2_b64 exec, exec, s[48:49]
	s_cbranch_execnz .LBB4_7
	s_branch .LBB4_4
.LBB4_10:
	s_endpgm
	.section	.rodata,"a",@progbits
	.p2align	6, 0x0
	.amdhsa_kernel _ZN4RAJA28launch_new_reduce_global_fcnIZ4mainEUlNS_14LaunchContextTINS_3hip33LaunchContextIndicesAndDimsPolicyINS2_14IndicesAndDimsILb0ELb0ELb0ELb0EEEEEEEE1_NS_4expt15ForallParamPackIJEEEEEvT_T0_
		.amdhsa_group_segment_fixed_size 0
		.amdhsa_private_segment_fixed_size 0
		.amdhsa_kernarg_size 512
		.amdhsa_user_sgpr_count 6
		.amdhsa_user_sgpr_private_segment_buffer 1
		.amdhsa_user_sgpr_dispatch_ptr 0
		.amdhsa_user_sgpr_queue_ptr 0
		.amdhsa_user_sgpr_kernarg_segment_ptr 1
		.amdhsa_user_sgpr_dispatch_id 0
		.amdhsa_user_sgpr_flat_scratch_init 0
		.amdhsa_user_sgpr_private_segment_size 0
		.amdhsa_uses_dynamic_stack 0
		.amdhsa_system_sgpr_private_segment_wavefront_offset 0
		.amdhsa_system_sgpr_workgroup_id_x 1
		.amdhsa_system_sgpr_workgroup_id_y 1
		.amdhsa_system_sgpr_workgroup_id_z 0
		.amdhsa_system_sgpr_workgroup_info 0
		.amdhsa_system_vgpr_workitem_id 1
		.amdhsa_next_free_vgpr 36
		.amdhsa_next_free_sgpr 54
		.amdhsa_reserve_vcc 1
		.amdhsa_reserve_flat_scratch 0
		.amdhsa_float_round_mode_32 0
		.amdhsa_float_round_mode_16_64 0
		.amdhsa_float_denorm_mode_32 3
		.amdhsa_float_denorm_mode_16_64 3
		.amdhsa_dx10_clamp 1
		.amdhsa_ieee_mode 1
		.amdhsa_fp16_overflow 0
		.amdhsa_exception_fp_ieee_invalid_op 0
		.amdhsa_exception_fp_denorm_src 0
		.amdhsa_exception_fp_ieee_div_zero 0
		.amdhsa_exception_fp_ieee_overflow 0
		.amdhsa_exception_fp_ieee_underflow 0
		.amdhsa_exception_fp_ieee_inexact 0
		.amdhsa_exception_int_div_zero 0
	.end_amdhsa_kernel
	.section	.text._ZN4RAJA28launch_new_reduce_global_fcnIZ4mainEUlNS_14LaunchContextTINS_3hip33LaunchContextIndicesAndDimsPolicyINS2_14IndicesAndDimsILb0ELb0ELb0ELb0EEEEEEEE1_NS_4expt15ForallParamPackIJEEEEEvT_T0_,"axG",@progbits,_ZN4RAJA28launch_new_reduce_global_fcnIZ4mainEUlNS_14LaunchContextTINS_3hip33LaunchContextIndicesAndDimsPolicyINS2_14IndicesAndDimsILb0ELb0ELb0ELb0EEEEEEEE1_NS_4expt15ForallParamPackIJEEEEEvT_T0_,comdat
.Lfunc_end4:
	.size	_ZN4RAJA28launch_new_reduce_global_fcnIZ4mainEUlNS_14LaunchContextTINS_3hip33LaunchContextIndicesAndDimsPolicyINS2_14IndicesAndDimsILb0ELb0ELb0ELb0EEEEEEEE1_NS_4expt15ForallParamPackIJEEEEEvT_T0_, .Lfunc_end4-_ZN4RAJA28launch_new_reduce_global_fcnIZ4mainEUlNS_14LaunchContextTINS_3hip33LaunchContextIndicesAndDimsPolicyINS2_14IndicesAndDimsILb0ELb0ELb0ELb0EEEEEEEE1_NS_4expt15ForallParamPackIJEEEEEvT_T0_
                                        ; -- End function
	.set _ZN4RAJA28launch_new_reduce_global_fcnIZ4mainEUlNS_14LaunchContextTINS_3hip33LaunchContextIndicesAndDimsPolicyINS2_14IndicesAndDimsILb0ELb0ELb0ELb0EEEEEEEE1_NS_4expt15ForallParamPackIJEEEEEvT_T0_.num_vgpr, 36
	.set _ZN4RAJA28launch_new_reduce_global_fcnIZ4mainEUlNS_14LaunchContextTINS_3hip33LaunchContextIndicesAndDimsPolicyINS2_14IndicesAndDimsILb0ELb0ELb0ELb0EEEEEEEE1_NS_4expt15ForallParamPackIJEEEEEvT_T0_.num_agpr, 0
	.set _ZN4RAJA28launch_new_reduce_global_fcnIZ4mainEUlNS_14LaunchContextTINS_3hip33LaunchContextIndicesAndDimsPolicyINS2_14IndicesAndDimsILb0ELb0ELb0ELb0EEEEEEEE1_NS_4expt15ForallParamPackIJEEEEEvT_T0_.numbered_sgpr, 54
	.set _ZN4RAJA28launch_new_reduce_global_fcnIZ4mainEUlNS_14LaunchContextTINS_3hip33LaunchContextIndicesAndDimsPolicyINS2_14IndicesAndDimsILb0ELb0ELb0ELb0EEEEEEEE1_NS_4expt15ForallParamPackIJEEEEEvT_T0_.num_named_barrier, 0
	.set _ZN4RAJA28launch_new_reduce_global_fcnIZ4mainEUlNS_14LaunchContextTINS_3hip33LaunchContextIndicesAndDimsPolicyINS2_14IndicesAndDimsILb0ELb0ELb0ELb0EEEEEEEE1_NS_4expt15ForallParamPackIJEEEEEvT_T0_.private_seg_size, 0
	.set _ZN4RAJA28launch_new_reduce_global_fcnIZ4mainEUlNS_14LaunchContextTINS_3hip33LaunchContextIndicesAndDimsPolicyINS2_14IndicesAndDimsILb0ELb0ELb0ELb0EEEEEEEE1_NS_4expt15ForallParamPackIJEEEEEvT_T0_.uses_vcc, 1
	.set _ZN4RAJA28launch_new_reduce_global_fcnIZ4mainEUlNS_14LaunchContextTINS_3hip33LaunchContextIndicesAndDimsPolicyINS2_14IndicesAndDimsILb0ELb0ELb0ELb0EEEEEEEE1_NS_4expt15ForallParamPackIJEEEEEvT_T0_.uses_flat_scratch, 0
	.set _ZN4RAJA28launch_new_reduce_global_fcnIZ4mainEUlNS_14LaunchContextTINS_3hip33LaunchContextIndicesAndDimsPolicyINS2_14IndicesAndDimsILb0ELb0ELb0ELb0EEEEEEEE1_NS_4expt15ForallParamPackIJEEEEEvT_T0_.has_dyn_sized_stack, 0
	.set _ZN4RAJA28launch_new_reduce_global_fcnIZ4mainEUlNS_14LaunchContextTINS_3hip33LaunchContextIndicesAndDimsPolicyINS2_14IndicesAndDimsILb0ELb0ELb0ELb0EEEEEEEE1_NS_4expt15ForallParamPackIJEEEEEvT_T0_.has_recursion, 0
	.set _ZN4RAJA28launch_new_reduce_global_fcnIZ4mainEUlNS_14LaunchContextTINS_3hip33LaunchContextIndicesAndDimsPolicyINS2_14IndicesAndDimsILb0ELb0ELb0ELb0EEEEEEEE1_NS_4expt15ForallParamPackIJEEEEEvT_T0_.has_indirect_call, 0
	.section	.AMDGPU.csdata,"",@progbits
; Kernel info:
; codeLenInByte = 1084
; TotalNumSgprs: 58
; NumVgprs: 36
; ScratchSize: 0
; MemoryBound: 1
; FloatMode: 240
; IeeeMode: 1
; LDSByteSize: 0 bytes/workgroup (compile time only)
; SGPRBlocks: 7
; VGPRBlocks: 8
; NumSGPRsForWavesPerEU: 58
; NumVGPRsForWavesPerEU: 36
; Occupancy: 7
; WaveLimiterHint : 0
; COMPUTE_PGM_RSRC2:SCRATCH_EN: 0
; COMPUTE_PGM_RSRC2:USER_SGPR: 6
; COMPUTE_PGM_RSRC2:TRAP_HANDLER: 0
; COMPUTE_PGM_RSRC2:TGID_X_EN: 1
; COMPUTE_PGM_RSRC2:TGID_Y_EN: 1
; COMPUTE_PGM_RSRC2:TGID_Z_EN: 0
; COMPUTE_PGM_RSRC2:TIDIG_COMP_CNT: 1
	.section	.AMDGPU.gpr_maximums,"",@progbits
	.set amdgpu.max_num_vgpr, 0
	.set amdgpu.max_num_agpr, 0
	.set amdgpu.max_num_sgpr, 0
	.section	.AMDGPU.csdata,"",@progbits
	.type	__hip_cuid_95ae52a0da786fd1,@object ; @__hip_cuid_95ae52a0da786fd1
	.section	.bss,"aw",@nobits
	.globl	__hip_cuid_95ae52a0da786fd1
__hip_cuid_95ae52a0da786fd1:
	.byte	0                               ; 0x0
	.size	__hip_cuid_95ae52a0da786fd1, 1

	.ident	"AMD clang version 22.0.0git (https://github.com/RadeonOpenCompute/llvm-project roc-7.2.4 26084 f58b06dce1f9c15707c5f808fd002e18c2accf7e)"
	.section	".note.GNU-stack","",@progbits
	.addrsig
	.addrsig_sym __hip_cuid_95ae52a0da786fd1
	.amdgpu_metadata
---
amdhsa.kernels:
  - .args:
      - .offset:         0
        .size:           4
        .value_kind:     by_value
      - .address_space:  global
        .offset:         8
        .size:           8
        .value_kind:     global_buffer
      - .address_space:  global
        .offset:         16
        .size:           8
        .value_kind:     global_buffer
      - .address_space:  global
        .offset:         24
        .size:           8
        .value_kind:     global_buffer
      - .offset:         32
        .size:           4
        .value_kind:     hidden_block_count_x
      - .offset:         36
        .size:           4
        .value_kind:     hidden_block_count_y
      - .offset:         40
        .size:           4
        .value_kind:     hidden_block_count_z
      - .offset:         44
        .size:           2
        .value_kind:     hidden_group_size_x
      - .offset:         46
        .size:           2
        .value_kind:     hidden_group_size_y
      - .offset:         48
        .size:           2
        .value_kind:     hidden_group_size_z
      - .offset:         50
        .size:           2
        .value_kind:     hidden_remainder_x
      - .offset:         52
        .size:           2
        .value_kind:     hidden_remainder_y
      - .offset:         54
        .size:           2
        .value_kind:     hidden_remainder_z
      - .offset:         72
        .size:           8
        .value_kind:     hidden_global_offset_x
      - .offset:         80
        .size:           8
        .value_kind:     hidden_global_offset_y
      - .offset:         88
        .size:           8
        .value_kind:     hidden_global_offset_z
      - .offset:         96
        .size:           2
        .value_kind:     hidden_grid_dims
    .group_segment_fixed_size: 0
    .kernarg_segment_align: 8
    .kernarg_segment_size: 288
    .language:       OpenCL C
    .language_version:
      - 2
      - 0
    .max_flat_workgroup_size: 1024
    .name:           _Z13matMultKerneliPdS_S_
    .private_segment_fixed_size: 0
    .sgpr_count:     13
    .sgpr_spill_count: 0
    .symbol:         _Z13matMultKerneliPdS_S_.kd
    .uniform_work_group_size: 1
    .uses_dynamic_stack: false
    .vgpr_count:     13
    .vgpr_spill_count: 0
    .wavefront_size: 64
  - .args:
      - .offset:         0
        .size:           4
        .value_kind:     by_value
      - .address_space:  global
        .offset:         8
        .size:           8
        .value_kind:     global_buffer
      - .address_space:  global
        .offset:         16
        .size:           8
        .value_kind:     global_buffer
      - .address_space:  global
        .offset:         24
        .size:           8
        .value_kind:     global_buffer
      - .offset:         32
        .size:           4
        .value_kind:     hidden_block_count_x
      - .offset:         36
        .size:           4
        .value_kind:     hidden_block_count_y
      - .offset:         40
        .size:           4
        .value_kind:     hidden_block_count_z
      - .offset:         44
        .size:           2
        .value_kind:     hidden_group_size_x
      - .offset:         46
        .size:           2
        .value_kind:     hidden_group_size_y
      - .offset:         48
        .size:           2
        .value_kind:     hidden_group_size_z
      - .offset:         50
        .size:           2
        .value_kind:     hidden_remainder_x
      - .offset:         52
        .size:           2
        .value_kind:     hidden_remainder_y
      - .offset:         54
        .size:           2
        .value_kind:     hidden_remainder_z
      - .offset:         72
        .size:           8
        .value_kind:     hidden_global_offset_x
      - .offset:         80
        .size:           8
        .value_kind:     hidden_global_offset_y
      - .offset:         88
        .size:           8
        .value_kind:     hidden_global_offset_z
      - .offset:         96
        .size:           2
        .value_kind:     hidden_grid_dims
    .group_segment_fixed_size: 6144
    .kernarg_segment_align: 8
    .kernarg_segment_size: 288
    .language:       OpenCL C
    .language_version:
      - 2
      - 0
    .max_flat_workgroup_size: 1024
    .name:           _Z19sharedMatMultKerneliPdS_S_
    .private_segment_fixed_size: 0
    .sgpr_count:     23
    .sgpr_spill_count: 0
    .symbol:         _Z19sharedMatMultKerneliPdS_S_.kd
    .uniform_work_group_size: 1
    .uses_dynamic_stack: false
    .vgpr_count:     29
    .vgpr_spill_count: 0
    .wavefront_size: 64
  - .args:
      - .offset:         0
        .size:           248
        .value_kind:     by_value
      - .offset:         248
        .size:           1
        .value_kind:     by_value
      - .offset:         256
        .size:           4
        .value_kind:     hidden_block_count_x
      - .offset:         260
        .size:           4
        .value_kind:     hidden_block_count_y
      - .offset:         264
        .size:           4
        .value_kind:     hidden_block_count_z
      - .offset:         268
        .size:           2
        .value_kind:     hidden_group_size_x
      - .offset:         270
        .size:           2
        .value_kind:     hidden_group_size_y
      - .offset:         272
        .size:           2
        .value_kind:     hidden_group_size_z
      - .offset:         274
        .size:           2
        .value_kind:     hidden_remainder_x
      - .offset:         276
        .size:           2
        .value_kind:     hidden_remainder_y
      - .offset:         278
        .size:           2
        .value_kind:     hidden_remainder_z
      - .offset:         296
        .size:           8
        .value_kind:     hidden_global_offset_x
      - .offset:         304
        .size:           8
        .value_kind:     hidden_global_offset_y
      - .offset:         312
        .size:           8
        .value_kind:     hidden_global_offset_z
      - .offset:         320
        .size:           2
        .value_kind:     hidden_grid_dims
    .group_segment_fixed_size: 0
    .kernarg_segment_align: 8
    .kernarg_segment_size: 512
    .language:       OpenCL C
    .language_version:
      - 2
      - 0
    .max_flat_workgroup_size: 1024
    .name:           _ZN4RAJA28launch_new_reduce_global_fcnIZ4mainEUlNS_14LaunchContextTINS_3hip33LaunchContextIndicesAndDimsPolicyINS2_14IndicesAndDimsILb0ELb0ELb0ELb0EEEEEEEE_NS_4expt15ForallParamPackIJEEEEEvT_T0_
    .private_segment_fixed_size: 0
    .sgpr_count:     28
    .sgpr_spill_count: 0
    .symbol:         _ZN4RAJA28launch_new_reduce_global_fcnIZ4mainEUlNS_14LaunchContextTINS_3hip33LaunchContextIndicesAndDimsPolicyINS2_14IndicesAndDimsILb0ELb0ELb0ELb0EEEEEEEE_NS_4expt15ForallParamPackIJEEEEEvT_T0_.kd
    .uniform_work_group_size: 1
    .uses_dynamic_stack: false
    .vgpr_count:     23
    .vgpr_spill_count: 0
    .wavefront_size: 64
  - .args:
      - .offset:         0
        .size:           248
        .value_kind:     by_value
      - .offset:         248
        .size:           1
        .value_kind:     by_value
      - .offset:         256
        .size:           4
        .value_kind:     hidden_block_count_x
      - .offset:         260
        .size:           4
        .value_kind:     hidden_block_count_y
      - .offset:         264
        .size:           4
        .value_kind:     hidden_block_count_z
      - .offset:         268
        .size:           2
        .value_kind:     hidden_group_size_x
      - .offset:         270
        .size:           2
        .value_kind:     hidden_group_size_y
      - .offset:         272
        .size:           2
        .value_kind:     hidden_group_size_z
      - .offset:         274
        .size:           2
        .value_kind:     hidden_remainder_x
      - .offset:         276
        .size:           2
        .value_kind:     hidden_remainder_y
      - .offset:         278
        .size:           2
        .value_kind:     hidden_remainder_z
      - .offset:         296
        .size:           8
        .value_kind:     hidden_global_offset_x
      - .offset:         304
        .size:           8
        .value_kind:     hidden_global_offset_y
      - .offset:         312
        .size:           8
        .value_kind:     hidden_global_offset_z
      - .offset:         320
        .size:           2
        .value_kind:     hidden_grid_dims
    .group_segment_fixed_size: 0
    .kernarg_segment_align: 8
    .kernarg_segment_size: 512
    .language:       OpenCL C
    .language_version:
      - 2
      - 0
    .max_flat_workgroup_size: 1024
    .name:           _ZN4RAJA28launch_new_reduce_global_fcnIZ4mainEUlNS_14LaunchContextTINS_3hip33LaunchContextIndicesAndDimsPolicyINS2_14IndicesAndDimsILb0ELb0ELb0ELb0EEEEEEEE0_NS_4expt15ForallParamPackIJEEEEEvT_T0_
    .private_segment_fixed_size: 0
    .sgpr_count:     40
    .sgpr_spill_count: 0
    .symbol:         _ZN4RAJA28launch_new_reduce_global_fcnIZ4mainEUlNS_14LaunchContextTINS_3hip33LaunchContextIndicesAndDimsPolicyINS2_14IndicesAndDimsILb0ELb0ELb0ELb0EEEEEEEE0_NS_4expt15ForallParamPackIJEEEEEvT_T0_.kd
    .uniform_work_group_size: 1
    .uses_dynamic_stack: false
    .vgpr_count:     31
    .vgpr_spill_count: 0
    .wavefront_size: 64
  - .args:
      - .offset:         0
        .size:           248
        .value_kind:     by_value
      - .offset:         248
        .size:           1
        .value_kind:     by_value
      - .offset:         256
        .size:           4
        .value_kind:     hidden_block_count_x
      - .offset:         260
        .size:           4
        .value_kind:     hidden_block_count_y
      - .offset:         264
        .size:           4
        .value_kind:     hidden_block_count_z
      - .offset:         268
        .size:           2
        .value_kind:     hidden_group_size_x
      - .offset:         270
        .size:           2
        .value_kind:     hidden_group_size_y
      - .offset:         272
        .size:           2
        .value_kind:     hidden_group_size_z
      - .offset:         274
        .size:           2
        .value_kind:     hidden_remainder_x
      - .offset:         276
        .size:           2
        .value_kind:     hidden_remainder_y
      - .offset:         278
        .size:           2
        .value_kind:     hidden_remainder_z
      - .offset:         296
        .size:           8
        .value_kind:     hidden_global_offset_x
      - .offset:         304
        .size:           8
        .value_kind:     hidden_global_offset_y
      - .offset:         312
        .size:           8
        .value_kind:     hidden_global_offset_z
      - .offset:         320
        .size:           2
        .value_kind:     hidden_grid_dims
    .group_segment_fixed_size: 0
    .kernarg_segment_align: 8
    .kernarg_segment_size: 512
    .language:       OpenCL C
    .language_version:
      - 2
      - 0
    .max_flat_workgroup_size: 1024
    .name:           _ZN4RAJA28launch_new_reduce_global_fcnIZ4mainEUlNS_14LaunchContextTINS_3hip33LaunchContextIndicesAndDimsPolicyINS2_14IndicesAndDimsILb0ELb0ELb0ELb0EEEEEEEE1_NS_4expt15ForallParamPackIJEEEEEvT_T0_
    .private_segment_fixed_size: 0
    .sgpr_count:     58
    .sgpr_spill_count: 0
    .symbol:         _ZN4RAJA28launch_new_reduce_global_fcnIZ4mainEUlNS_14LaunchContextTINS_3hip33LaunchContextIndicesAndDimsPolicyINS2_14IndicesAndDimsILb0ELb0ELb0ELb0EEEEEEEE1_NS_4expt15ForallParamPackIJEEEEEvT_T0_.kd
    .uniform_work_group_size: 1
    .uses_dynamic_stack: false
    .vgpr_count:     36
    .vgpr_spill_count: 0
    .wavefront_size: 64
amdhsa.target:   amdgcn-amd-amdhsa--gfx906
amdhsa.version:
  - 1
  - 2
...

	.end_amdgpu_metadata
